;; amdgpu-corpus repo=ROCm/rocFFT kind=compiled arch=gfx1201 opt=O3
	.text
	.amdgcn_target "amdgcn-amd-amdhsa--gfx1201"
	.amdhsa_code_object_version 6
	.protected	fft_rtc_back_len1617_factors_3_7_7_11_wgs_231_tpt_231_sp_op_CI_CI_unitstride_sbrr_dirReg ; -- Begin function fft_rtc_back_len1617_factors_3_7_7_11_wgs_231_tpt_231_sp_op_CI_CI_unitstride_sbrr_dirReg
	.globl	fft_rtc_back_len1617_factors_3_7_7_11_wgs_231_tpt_231_sp_op_CI_CI_unitstride_sbrr_dirReg
	.p2align	8
	.type	fft_rtc_back_len1617_factors_3_7_7_11_wgs_231_tpt_231_sp_op_CI_CI_unitstride_sbrr_dirReg,@function
fft_rtc_back_len1617_factors_3_7_7_11_wgs_231_tpt_231_sp_op_CI_CI_unitstride_sbrr_dirReg: ; @fft_rtc_back_len1617_factors_3_7_7_11_wgs_231_tpt_231_sp_op_CI_CI_unitstride_sbrr_dirReg
; %bb.0:
	s_clause 0x2
	s_load_b128 s[8:11], s[0:1], 0x0
	s_load_b128 s[4:7], s[0:1], 0x58
	;; [unrolled: 1-line block ×3, first 2 shown]
	v_mul_u32_u24_e32 v1, 0x11c, v0
	v_mov_b32_e32 v3, 0
	s_delay_alu instid0(VALU_DEP_2) | instskip(NEXT) | instid1(VALU_DEP_1)
	v_lshrrev_b32_e32 v1, 16, v1
	v_add_nc_u32_e32 v5, ttmp9, v1
	v_mov_b32_e32 v1, 0
	v_mov_b32_e32 v2, 0
	;; [unrolled: 1-line block ×3, first 2 shown]
	s_wait_kmcnt 0x0
	v_cmp_lt_u64_e64 s2, s[10:11], 2
	s_delay_alu instid0(VALU_DEP_1)
	s_and_b32 vcc_lo, exec_lo, s2
	s_cbranch_vccnz .LBB0_8
; %bb.1:
	s_load_b64 s[2:3], s[0:1], 0x10
	v_mov_b32_e32 v1, 0
	v_mov_b32_e32 v2, 0
	s_add_nc_u64 s[16:17], s[14:15], 8
	s_add_nc_u64 s[18:19], s[12:13], 8
	s_mov_b64 s[20:21], 1
	s_delay_alu instid0(VALU_DEP_1)
	v_dual_mov_b32 v21, v2 :: v_dual_mov_b32 v20, v1
	s_wait_kmcnt 0x0
	s_add_nc_u64 s[22:23], s[2:3], 8
	s_mov_b32 s3, 0
.LBB0_2:                                ; =>This Inner Loop Header: Depth=1
	s_load_b64 s[24:25], s[22:23], 0x0
                                        ; implicit-def: $vgpr23_vgpr24
	s_mov_b32 s2, exec_lo
	s_wait_kmcnt 0x0
	v_or_b32_e32 v4, s25, v6
	s_delay_alu instid0(VALU_DEP_1)
	v_cmpx_ne_u64_e32 0, v[3:4]
	s_wait_alu 0xfffe
	s_xor_b32 s26, exec_lo, s2
	s_cbranch_execz .LBB0_4
; %bb.3:                                ;   in Loop: Header=BB0_2 Depth=1
	s_cvt_f32_u32 s2, s24
	s_cvt_f32_u32 s27, s25
	s_sub_nc_u64 s[30:31], 0, s[24:25]
	s_wait_alu 0xfffe
	s_delay_alu instid0(SALU_CYCLE_1) | instskip(SKIP_1) | instid1(SALU_CYCLE_2)
	s_fmamk_f32 s2, s27, 0x4f800000, s2
	s_wait_alu 0xfffe
	v_s_rcp_f32 s2, s2
	s_delay_alu instid0(TRANS32_DEP_1) | instskip(SKIP_1) | instid1(SALU_CYCLE_2)
	s_mul_f32 s2, s2, 0x5f7ffffc
	s_wait_alu 0xfffe
	s_mul_f32 s27, s2, 0x2f800000
	s_wait_alu 0xfffe
	s_delay_alu instid0(SALU_CYCLE_2) | instskip(SKIP_1) | instid1(SALU_CYCLE_2)
	s_trunc_f32 s27, s27
	s_wait_alu 0xfffe
	s_fmamk_f32 s2, s27, 0xcf800000, s2
	s_cvt_u32_f32 s29, s27
	s_wait_alu 0xfffe
	s_delay_alu instid0(SALU_CYCLE_1) | instskip(SKIP_1) | instid1(SALU_CYCLE_2)
	s_cvt_u32_f32 s28, s2
	s_wait_alu 0xfffe
	s_mul_u64 s[34:35], s[30:31], s[28:29]
	s_wait_alu 0xfffe
	s_mul_hi_u32 s37, s28, s35
	s_mul_i32 s36, s28, s35
	s_mul_hi_u32 s2, s28, s34
	s_mul_i32 s33, s29, s34
	s_wait_alu 0xfffe
	s_add_nc_u64 s[36:37], s[2:3], s[36:37]
	s_mul_hi_u32 s27, s29, s34
	s_mul_hi_u32 s38, s29, s35
	s_add_co_u32 s2, s36, s33
	s_wait_alu 0xfffe
	s_add_co_ci_u32 s2, s37, s27
	s_mul_i32 s34, s29, s35
	s_add_co_ci_u32 s35, s38, 0
	s_wait_alu 0xfffe
	s_add_nc_u64 s[34:35], s[2:3], s[34:35]
	s_wait_alu 0xfffe
	v_add_co_u32 v4, s2, s28, s34
	s_delay_alu instid0(VALU_DEP_1) | instskip(SKIP_1) | instid1(VALU_DEP_1)
	s_cmp_lg_u32 s2, 0
	s_add_co_ci_u32 s29, s29, s35
	v_readfirstlane_b32 s28, v4
	s_wait_alu 0xfffe
	s_delay_alu instid0(VALU_DEP_1)
	s_mul_u64 s[30:31], s[30:31], s[28:29]
	s_wait_alu 0xfffe
	s_mul_hi_u32 s35, s28, s31
	s_mul_i32 s34, s28, s31
	s_mul_hi_u32 s2, s28, s30
	s_mul_i32 s33, s29, s30
	s_wait_alu 0xfffe
	s_add_nc_u64 s[34:35], s[2:3], s[34:35]
	s_mul_hi_u32 s27, s29, s30
	s_mul_hi_u32 s28, s29, s31
	s_wait_alu 0xfffe
	s_add_co_u32 s2, s34, s33
	s_add_co_ci_u32 s2, s35, s27
	s_mul_i32 s30, s29, s31
	s_add_co_ci_u32 s31, s28, 0
	s_wait_alu 0xfffe
	s_add_nc_u64 s[30:31], s[2:3], s[30:31]
	s_wait_alu 0xfffe
	v_add_co_u32 v4, s2, v4, s30
	s_delay_alu instid0(VALU_DEP_1) | instskip(SKIP_1) | instid1(VALU_DEP_1)
	s_cmp_lg_u32 s2, 0
	s_add_co_ci_u32 s2, s29, s31
	v_mul_hi_u32 v13, v5, v4
	s_wait_alu 0xfffe
	v_mad_co_u64_u32 v[7:8], null, v5, s2, 0
	v_mad_co_u64_u32 v[9:10], null, v6, v4, 0
	;; [unrolled: 1-line block ×3, first 2 shown]
	s_delay_alu instid0(VALU_DEP_3) | instskip(SKIP_1) | instid1(VALU_DEP_4)
	v_add_co_u32 v4, vcc_lo, v13, v7
	s_wait_alu 0xfffd
	v_add_co_ci_u32_e32 v7, vcc_lo, 0, v8, vcc_lo
	s_delay_alu instid0(VALU_DEP_2) | instskip(SKIP_1) | instid1(VALU_DEP_2)
	v_add_co_u32 v4, vcc_lo, v4, v9
	s_wait_alu 0xfffd
	v_add_co_ci_u32_e32 v4, vcc_lo, v7, v10, vcc_lo
	s_wait_alu 0xfffd
	v_add_co_ci_u32_e32 v7, vcc_lo, 0, v12, vcc_lo
	s_delay_alu instid0(VALU_DEP_2) | instskip(SKIP_1) | instid1(VALU_DEP_2)
	v_add_co_u32 v4, vcc_lo, v4, v11
	s_wait_alu 0xfffd
	v_add_co_ci_u32_e32 v9, vcc_lo, 0, v7, vcc_lo
	s_delay_alu instid0(VALU_DEP_2) | instskip(SKIP_1) | instid1(VALU_DEP_3)
	v_mul_lo_u32 v10, s25, v4
	v_mad_co_u64_u32 v[7:8], null, s24, v4, 0
	v_mul_lo_u32 v11, s24, v9
	s_delay_alu instid0(VALU_DEP_2) | instskip(NEXT) | instid1(VALU_DEP_2)
	v_sub_co_u32 v7, vcc_lo, v5, v7
	v_add3_u32 v8, v8, v11, v10
	s_delay_alu instid0(VALU_DEP_1) | instskip(SKIP_1) | instid1(VALU_DEP_1)
	v_sub_nc_u32_e32 v10, v6, v8
	s_wait_alu 0xfffd
	v_subrev_co_ci_u32_e64 v10, s2, s25, v10, vcc_lo
	v_add_co_u32 v11, s2, v4, 2
	s_wait_alu 0xf1ff
	v_add_co_ci_u32_e64 v12, s2, 0, v9, s2
	v_sub_co_u32 v13, s2, v7, s24
	v_sub_co_ci_u32_e32 v8, vcc_lo, v6, v8, vcc_lo
	s_wait_alu 0xf1ff
	v_subrev_co_ci_u32_e64 v10, s2, 0, v10, s2
	s_delay_alu instid0(VALU_DEP_3) | instskip(NEXT) | instid1(VALU_DEP_3)
	v_cmp_le_u32_e32 vcc_lo, s24, v13
	v_cmp_eq_u32_e64 s2, s25, v8
	s_wait_alu 0xfffd
	v_cndmask_b32_e64 v13, 0, -1, vcc_lo
	v_cmp_le_u32_e32 vcc_lo, s25, v10
	s_wait_alu 0xfffd
	v_cndmask_b32_e64 v14, 0, -1, vcc_lo
	v_cmp_le_u32_e32 vcc_lo, s24, v7
	;; [unrolled: 3-line block ×3, first 2 shown]
	s_wait_alu 0xfffd
	v_cndmask_b32_e64 v15, 0, -1, vcc_lo
	v_cmp_eq_u32_e32 vcc_lo, s25, v10
	s_wait_alu 0xf1ff
	s_delay_alu instid0(VALU_DEP_2)
	v_cndmask_b32_e64 v7, v15, v7, s2
	s_wait_alu 0xfffd
	v_cndmask_b32_e32 v10, v14, v13, vcc_lo
	v_add_co_u32 v13, vcc_lo, v4, 1
	s_wait_alu 0xfffd
	v_add_co_ci_u32_e32 v14, vcc_lo, 0, v9, vcc_lo
	s_delay_alu instid0(VALU_DEP_3) | instskip(SKIP_2) | instid1(VALU_DEP_3)
	v_cmp_ne_u32_e32 vcc_lo, 0, v10
	s_wait_alu 0xfffd
	v_cndmask_b32_e32 v10, v13, v11, vcc_lo
	v_cndmask_b32_e32 v8, v14, v12, vcc_lo
	v_cmp_ne_u32_e32 vcc_lo, 0, v7
	s_wait_alu 0xfffd
	s_delay_alu instid0(VALU_DEP_2)
	v_dual_cndmask_b32 v23, v4, v10 :: v_dual_cndmask_b32 v24, v9, v8
.LBB0_4:                                ;   in Loop: Header=BB0_2 Depth=1
	s_wait_alu 0xfffe
	s_and_not1_saveexec_b32 s2, s26
	s_cbranch_execz .LBB0_6
; %bb.5:                                ;   in Loop: Header=BB0_2 Depth=1
	v_cvt_f32_u32_e32 v4, s24
	s_sub_co_i32 s26, 0, s24
	v_mov_b32_e32 v24, v3
	s_delay_alu instid0(VALU_DEP_2) | instskip(NEXT) | instid1(TRANS32_DEP_1)
	v_rcp_iflag_f32_e32 v4, v4
	v_mul_f32_e32 v4, 0x4f7ffffe, v4
	s_delay_alu instid0(VALU_DEP_1) | instskip(SKIP_1) | instid1(VALU_DEP_1)
	v_cvt_u32_f32_e32 v4, v4
	s_wait_alu 0xfffe
	v_mul_lo_u32 v7, s26, v4
	s_delay_alu instid0(VALU_DEP_1) | instskip(NEXT) | instid1(VALU_DEP_1)
	v_mul_hi_u32 v7, v4, v7
	v_add_nc_u32_e32 v4, v4, v7
	s_delay_alu instid0(VALU_DEP_1) | instskip(NEXT) | instid1(VALU_DEP_1)
	v_mul_hi_u32 v4, v5, v4
	v_mul_lo_u32 v7, v4, s24
	v_add_nc_u32_e32 v8, 1, v4
	s_delay_alu instid0(VALU_DEP_2) | instskip(NEXT) | instid1(VALU_DEP_1)
	v_sub_nc_u32_e32 v7, v5, v7
	v_subrev_nc_u32_e32 v9, s24, v7
	v_cmp_le_u32_e32 vcc_lo, s24, v7
	s_wait_alu 0xfffd
	s_delay_alu instid0(VALU_DEP_2) | instskip(NEXT) | instid1(VALU_DEP_1)
	v_dual_cndmask_b32 v7, v7, v9 :: v_dual_cndmask_b32 v4, v4, v8
	v_cmp_le_u32_e32 vcc_lo, s24, v7
	s_delay_alu instid0(VALU_DEP_2) | instskip(SKIP_1) | instid1(VALU_DEP_1)
	v_add_nc_u32_e32 v8, 1, v4
	s_wait_alu 0xfffd
	v_cndmask_b32_e32 v23, v4, v8, vcc_lo
.LBB0_6:                                ;   in Loop: Header=BB0_2 Depth=1
	s_wait_alu 0xfffe
	s_or_b32 exec_lo, exec_lo, s2
	v_mul_lo_u32 v4, v24, s24
	s_delay_alu instid0(VALU_DEP_2)
	v_mul_lo_u32 v9, v23, s25
	s_load_b64 s[26:27], s[18:19], 0x0
	v_mad_co_u64_u32 v[7:8], null, v23, s24, 0
	s_load_b64 s[24:25], s[16:17], 0x0
	s_add_nc_u64 s[20:21], s[20:21], 1
	s_add_nc_u64 s[16:17], s[16:17], 8
	s_wait_alu 0xfffe
	v_cmp_ge_u64_e64 s2, s[20:21], s[10:11]
	s_add_nc_u64 s[18:19], s[18:19], 8
	s_add_nc_u64 s[22:23], s[22:23], 8
	v_add3_u32 v4, v8, v9, v4
	v_sub_co_u32 v5, vcc_lo, v5, v7
	s_wait_alu 0xfffd
	s_delay_alu instid0(VALU_DEP_2) | instskip(SKIP_2) | instid1(VALU_DEP_1)
	v_sub_co_ci_u32_e32 v4, vcc_lo, v6, v4, vcc_lo
	s_and_b32 vcc_lo, exec_lo, s2
	s_wait_kmcnt 0x0
	v_mul_lo_u32 v6, s26, v4
	v_mul_lo_u32 v7, s27, v5
	v_mad_co_u64_u32 v[1:2], null, s26, v5, v[1:2]
	v_mul_lo_u32 v4, s24, v4
	v_mul_lo_u32 v8, s25, v5
	v_mad_co_u64_u32 v[20:21], null, s24, v5, v[20:21]
	s_delay_alu instid0(VALU_DEP_4) | instskip(NEXT) | instid1(VALU_DEP_2)
	v_add3_u32 v2, v7, v2, v6
	v_add3_u32 v21, v8, v21, v4
	s_wait_alu 0xfffe
	s_cbranch_vccnz .LBB0_9
; %bb.7:                                ;   in Loop: Header=BB0_2 Depth=1
	v_dual_mov_b32 v5, v23 :: v_dual_mov_b32 v6, v24
	s_branch .LBB0_2
.LBB0_8:
	v_dual_mov_b32 v21, v2 :: v_dual_mov_b32 v20, v1
	v_dual_mov_b32 v24, v6 :: v_dual_mov_b32 v23, v5
.LBB0_9:
	s_load_b64 s[0:1], s[0:1], 0x28
	v_mul_hi_u32 v4, 0x11bb4a5, v0
	s_lshl_b64 s[10:11], s[10:11], 3
                                        ; implicit-def: $vgpr22
	s_wait_alu 0xfffe
	s_add_nc_u64 s[2:3], s[14:15], s[10:11]
	s_wait_kmcnt 0x0
	v_cmp_gt_u64_e32 vcc_lo, s[0:1], v[23:24]
	v_cmp_le_u64_e64 s0, s[0:1], v[23:24]
	s_delay_alu instid0(VALU_DEP_1)
	s_and_saveexec_b32 s1, s0
	s_wait_alu 0xfffe
	s_xor_b32 s0, exec_lo, s1
; %bb.10:
	v_mul_u32_u24_e32 v1, 0xe7, v4
                                        ; implicit-def: $vgpr4
	s_delay_alu instid0(VALU_DEP_1)
	v_sub_nc_u32_e32 v22, v0, v1
                                        ; implicit-def: $vgpr0
                                        ; implicit-def: $vgpr1_vgpr2
; %bb.11:
	s_wait_alu 0xfffe
	s_or_saveexec_b32 s1, s0
	s_load_b64 s[2:3], s[2:3], 0x0
                                        ; implicit-def: $vgpr3
                                        ; implicit-def: $vgpr17
                                        ; implicit-def: $vgpr19
                                        ; implicit-def: $vgpr5
                                        ; implicit-def: $vgpr15
                                        ; implicit-def: $vgpr7
                                        ; implicit-def: $vgpr13
                                        ; implicit-def: $vgpr11
                                        ; implicit-def: $vgpr9
	s_xor_b32 exec_lo, exec_lo, s1
	s_cbranch_execz .LBB0_15
; %bb.12:
	s_add_nc_u64 s[10:11], s[12:13], s[10:11]
	v_lshlrev_b64_e32 v[1:2], 3, v[1:2]
	s_load_b64 s[10:11], s[10:11], 0x0
                                        ; implicit-def: $vgpr8
                                        ; implicit-def: $vgpr10
                                        ; implicit-def: $vgpr12
	s_wait_kmcnt 0x0
	v_mul_lo_u32 v3, s11, v23
	v_mul_lo_u32 v7, s10, v24
	v_mad_co_u64_u32 v[5:6], null, s10, v23, 0
	s_delay_alu instid0(VALU_DEP_1) | instskip(SKIP_1) | instid1(VALU_DEP_2)
	v_add3_u32 v6, v6, v7, v3
	v_mul_u32_u24_e32 v7, 0xe7, v4
	v_lshlrev_b64_e32 v[3:4], 3, v[5:6]
	s_delay_alu instid0(VALU_DEP_2) | instskip(NEXT) | instid1(VALU_DEP_2)
	v_sub_nc_u32_e32 v22, v0, v7
	v_add_co_u32 v0, s0, s4, v3
	s_wait_alu 0xf1ff
	s_delay_alu instid0(VALU_DEP_3) | instskip(NEXT) | instid1(VALU_DEP_3)
	v_add_co_ci_u32_e64 v3, s0, s5, v4, s0
	v_lshlrev_b32_e32 v4, 3, v22
	s_delay_alu instid0(VALU_DEP_3) | instskip(SKIP_1) | instid1(VALU_DEP_3)
	v_add_co_u32 v0, s0, v0, v1
	s_wait_alu 0xf1ff
	v_add_co_ci_u32_e64 v1, s0, v3, v2, s0
	s_mov_b32 s4, exec_lo
	s_delay_alu instid0(VALU_DEP_2) | instskip(SKIP_1) | instid1(VALU_DEP_2)
	v_add_co_u32 v0, s0, v0, v4
	s_wait_alu 0xf1ff
	v_add_co_ci_u32_e64 v1, s0, 0, v1, s0
	s_clause 0x5
	global_load_b64 v[2:3], v[0:1], off
	global_load_b64 v[14:15], v[0:1], off offset:6160
	global_load_b64 v[16:17], v[0:1], off offset:4312
	;; [unrolled: 1-line block ×5, first 2 shown]
	v_cmpx_gt_u32_e32 0x4d, v22
; %bb.13:
	s_clause 0x2
	global_load_b64 v[8:9], v[0:1], off offset:3696
	global_load_b64 v[10:11], v[0:1], off offset:8008
	global_load_b64 v[12:13], v[0:1], off offset:12320
; %bb.14:
	s_wait_alu 0xfffe
	s_or_b32 exec_lo, exec_lo, s4
.LBB0_15:
	s_delay_alu instid0(SALU_CYCLE_1)
	s_or_b32 exec_lo, exec_lo, s1
	s_wait_loadcnt 0x1
	v_dual_add_f32 v0, v16, v18 :: v_dual_add_f32 v1, v2, v16
	v_sub_f32_e32 v25, v17, v19
	s_wait_loadcnt 0x0
	v_dual_add_f32 v26, v17, v19 :: v_dual_add_f32 v27, v14, v6
	s_delay_alu instid0(VALU_DEP_3) | instskip(SKIP_1) | instid1(VALU_DEP_3)
	v_fmac_f32_e32 v2, -0.5, v0
	v_dual_add_f32 v0, v3, v17 :: v_dual_add_f32 v17, v1, v18
	v_fmac_f32_e32 v3, -0.5, v26
	s_mov_b32 s1, exec_lo
	s_delay_alu instid0(VALU_DEP_3) | instskip(SKIP_4) | instid1(VALU_DEP_4)
	v_fmamk_f32 v26, v25, 0xbf5db3d7, v2
	v_dual_fmac_f32 v2, 0x3f5db3d7, v25 :: v_dual_sub_f32 v1, v16, v18
	v_add_f32_e32 v18, v0, v19
	v_dual_add_f32 v0, v4, v14 :: v_dual_add_f32 v19, v15, v7
	v_fmac_f32_e32 v4, -0.5, v27
	v_dual_sub_f32 v16, v15, v7 :: v_dual_fmamk_f32 v27, v1, 0x3f5db3d7, v3
	s_delay_alu instid0(VALU_DEP_3)
	v_add_f32_e32 v28, v0, v6
	v_sub_f32_e32 v6, v14, v6
	v_add_f32_e32 v0, v5, v15
	v_fmac_f32_e32 v5, -0.5, v19
	v_fmac_f32_e32 v3, 0xbf5db3d7, v1
	v_add_f32_e32 v1, v12, v10
	v_fmamk_f32 v30, v16, 0xbf5db3d7, v4
	v_mad_u32_u24 v25, v22, 24, 0
	v_fmamk_f32 v31, v6, 0x3f5db3d7, v5
	v_add_f32_e32 v29, v0, v7
	v_dual_sub_f32 v7, v11, v13 :: v_dual_add_f32 v14, v13, v11
	v_fmac_f32_e32 v5, 0xbf5db3d7, v6
	v_fma_f32 v0, -0.5, v1, v8
	v_add_nc_u32_e32 v15, 0x15a8, v25
	s_delay_alu instid0(VALU_DEP_4) | instskip(SKIP_3) | instid1(VALU_DEP_3)
	v_fma_f32 v1, -0.5, v14, v9
	v_sub_f32_e32 v14, v10, v12
	v_fmac_f32_e32 v4, 0x3f5db3d7, v16
	v_fmamk_f32 v6, v7, 0xbf5db3d7, v0
	v_dual_fmac_f32 v0, 0x3f5db3d7, v7 :: v_dual_fmamk_f32 v7, v14, 0x3f5db3d7, v1
	v_fmac_f32_e32 v1, 0xbf5db3d7, v14
	ds_store_2addr_b64 v25, v[17:18], v[26:27] offset1:1
	ds_store_b64 v25, v[2:3] offset:16
	ds_store_2addr_b64 v15, v[28:29], v[30:31] offset1:1
	ds_store_b64 v25, v[4:5] offset:5560
	v_cmpx_gt_u32_e32 0x4d, v22
	s_cbranch_execz .LBB0_17
; %bb.16:
	v_add_f32_e32 v2, v11, v9
	v_dual_add_f32 v4, v10, v8 :: v_dual_add_nc_u32 v5, 0x2b50, v25
	s_delay_alu instid0(VALU_DEP_1)
	v_dual_add_f32 v3, v13, v2 :: v_dual_add_f32 v2, v12, v4
	ds_store_2addr_b64 v5, v[2:3], v[6:7] offset1:1
	ds_store_b64 v25, v[0:1] offset:11104
.LBB0_17:
	s_wait_alu 0xfffe
	s_or_b32 exec_lo, exec_lo, s1
	v_and_b32_e32 v2, 0xff, v22
	global_wb scope:SCOPE_SE
	s_wait_dscnt 0x0
	s_wait_kmcnt 0x0
	s_barrier_signal -1
	s_barrier_wait -1
	global_inv scope:SCOPE_SE
	v_mul_lo_u16 v3, 0xab, v2
	v_mul_lo_u16 v2, 0x87, v2
	v_cmp_gt_u32_e64 s0, 0x93, v22
	s_delay_alu instid0(VALU_DEP_3) | instskip(NEXT) | instid1(VALU_DEP_1)
	v_lshrrev_b16 v3, 9, v3
	v_mul_lo_u16 v4, v3, 3
	s_delay_alu instid0(VALU_DEP_1) | instskip(NEXT) | instid1(VALU_DEP_1)
	v_sub_nc_u16 v4, v22, v4
	v_and_b32_e32 v4, 0xff, v4
	s_delay_alu instid0(VALU_DEP_1) | instskip(NEXT) | instid1(VALU_DEP_1)
	v_mul_u32_u24_e32 v5, 6, v4
	v_lshlrev_b32_e32 v5, 3, v5
	s_clause 0x2
	global_load_b128 v[8:11], v5, s[8:9]
	global_load_b128 v[12:15], v5, s[8:9] offset:16
	global_load_b128 v[16:19], v5, s[8:9] offset:32
	v_lshrrev_b16 v5, 8, v2
	s_delay_alu instid0(VALU_DEP_1) | instskip(NEXT) | instid1(VALU_DEP_1)
	v_sub_nc_u16 v2, v22, v5
	v_lshrrev_b16 v2, 1, v2
	s_delay_alu instid0(VALU_DEP_1) | instskip(SKIP_1) | instid1(VALU_DEP_1)
	v_and_b32_e32 v26, 0x7f, v2
	v_lshlrev_b32_e32 v2, 4, v22
	v_sub_nc_u32_e32 v38, v25, v2
	s_delay_alu instid0(VALU_DEP_1)
	v_add_nc_u32_e32 v39, 0xe00, v38
	v_add_nc_u32_e32 v40, 0x1c80, v38
	ds_load_2addr_b64 v[30:33], v39 offset0:14 offset1:245
	v_and_b32_e32 v3, 0xffff, v3
	ds_load_2addr_b64 v[34:37], v40 offset0:12 offset1:243
	s_wait_loadcnt_dscnt 0x101
	v_dual_mul_f32 v45, v11, v31 :: v_dual_mul_f32 v46, v13, v33
	v_mul_f32_e32 v13, v13, v32
	v_add_nc_u16 v5, v26, v5
	ds_load_2addr_b64 v[26:29], v38 offset1:231
	v_mul_u32_u24_e32 v42, 0xa8, v3
	s_wait_loadcnt_dscnt 0x1
	v_dual_mul_f32 v48, v17, v37 :: v_dual_lshlrev_b32 v43, 3, v4
	v_lshrrev_b16 v5, 4, v5
	ds_load_b64 v[3:4], v38 offset:11088
	v_dual_fmac_f32 v45, v10, v30 :: v_dual_fmac_f32 v46, v12, v32
	v_mul_f32_e32 v47, v15, v35
	v_and_b32_e32 v5, 15, v5
	v_mul_f32_e32 v17, v17, v36
	v_add3_u32 v42, 0, v42, v43
	global_wb scope:SCOPE_SE
	s_wait_dscnt 0x0
	s_barrier_signal -1
	v_mul_lo_u16 v41, v5, 21
	s_barrier_wait -1
	global_inv scope:SCOPE_SE
	v_fmac_f32_e32 v48, v16, v36
	v_sub_nc_u16 v41, v22, v41
	v_mul_f32_e32 v44, v9, v29
	v_mul_f32_e32 v9, v9, v28
	s_delay_alu instid0(VALU_DEP_3) | instskip(SKIP_1) | instid1(VALU_DEP_4)
	v_and_b32_e32 v41, 0xff, v41
	v_mul_f32_e32 v49, v19, v4
	v_dual_mul_f32 v19, v19, v3 :: v_dual_fmac_f32 v44, v8, v28
	s_delay_alu instid0(VALU_DEP_4) | instskip(NEXT) | instid1(VALU_DEP_4)
	v_fma_f32 v8, v8, v29, -v9
	v_mul_u32_u24_e32 v43, 6, v41
	s_delay_alu instid0(VALU_DEP_4) | instskip(SKIP_3) | instid1(VALU_DEP_3)
	v_fmac_f32_e32 v49, v18, v3
	v_mul_f32_e32 v11, v11, v30
	v_mul_f32_e32 v15, v15, v34
	v_fma_f32 v3, v18, v4, -v19
	v_fma_f32 v9, v10, v31, -v11
	;; [unrolled: 1-line block ×3, first 2 shown]
	s_delay_alu instid0(VALU_DEP_4)
	v_fma_f32 v4, v14, v35, -v15
	v_add_f32_e32 v12, v44, v49
	v_add_f32_e32 v13, v8, v3
	v_dual_sub_f32 v3, v8, v3 :: v_dual_add_f32 v8, v45, v48
	v_fma_f32 v11, v16, v37, -v17
	v_dual_add_f32 v17, v10, v4 :: v_dual_sub_f32 v4, v4, v10
	s_delay_alu instid0(VALU_DEP_3) | instskip(SKIP_1) | instid1(VALU_DEP_4)
	v_dual_add_f32 v10, v8, v12 :: v_dual_fmac_f32 v47, v14, v34
	v_sub_f32_e32 v16, v45, v48
	v_dual_add_f32 v15, v9, v11 :: v_dual_sub_f32 v28, v8, v12
	s_delay_alu instid0(VALU_DEP_3) | instskip(SKIP_1) | instid1(VALU_DEP_2)
	v_dual_sub_f32 v18, v47, v46 :: v_dual_sub_f32 v9, v9, v11
	v_sub_f32_e32 v14, v44, v49
	v_sub_f32_e32 v32, v18, v16
	v_add_f32_e32 v30, v18, v16
	v_dual_add_f32 v11, v46, v47 :: v_dual_sub_f32 v34, v3, v4
	s_delay_alu instid0(VALU_DEP_4) | instskip(SKIP_1) | instid1(VALU_DEP_4)
	v_sub_f32_e32 v18, v14, v18
	v_sub_f32_e32 v16, v16, v14
	v_add_f32_e32 v14, v30, v14
	s_delay_alu instid0(VALU_DEP_4)
	v_sub_f32_e32 v12, v12, v11
	v_sub_f32_e32 v8, v11, v8
	v_add_f32_e32 v19, v15, v13
	v_sub_f32_e32 v29, v15, v13
	v_dual_sub_f32 v13, v13, v17 :: v_dual_add_f32 v10, v11, v10
	v_sub_f32_e32 v15, v17, v15
	v_dual_add_f32 v31, v4, v9 :: v_dual_mul_f32 v12, 0x3f4a47b2, v12
	v_sub_f32_e32 v33, v4, v9
	v_add_f32_e32 v11, v17, v19
	v_mul_f32_e32 v19, 0x3d64c772, v8
	s_delay_alu instid0(VALU_DEP_4) | instskip(SKIP_2) | instid1(VALU_DEP_4)
	v_add_f32_e32 v17, v31, v3
	v_mul_f32_e32 v30, 0x3d64c772, v15
	v_dual_sub_f32 v9, v9, v3 :: v_dual_fmamk_f32 v8, v8, 0x3d64c772, v12
	v_fma_f32 v19, 0x3f3bfb3b, v28, -v19
	v_dual_mul_f32 v31, 0x3f08b237, v32 :: v_dual_mul_f32 v32, 0x3f08b237, v33
	v_dual_mul_f32 v13, 0x3f4a47b2, v13 :: v_dual_add_f32 v4, v11, v27
	v_fma_f32 v12, 0xbf3bfb3b, v28, -v12
	v_add_f32_e32 v3, v10, v26
	s_delay_alu instid0(VALU_DEP_4) | instskip(NEXT) | instid1(VALU_DEP_4)
	v_fmamk_f32 v28, v34, 0xbeae86e6, v32
	v_fmamk_f32 v15, v15, 0x3d64c772, v13
	v_fma_f32 v26, 0x3f3bfb3b, v29, -v30
	v_fma_f32 v13, 0xbf3bfb3b, v29, -v13
	;; [unrolled: 1-line block ×3, first 2 shown]
	v_fmac_f32_e32 v28, 0xbee1c552, v17
	v_mul_f32_e32 v33, 0xbf5ff5aa, v16
	v_fma_f32 v16, 0xbf5ff5aa, v16, -v31
	s_delay_alu instid0(VALU_DEP_4) | instskip(SKIP_2) | instid1(VALU_DEP_4)
	v_fmac_f32_e32 v29, 0xbee1c552, v17
	v_mul_f32_e32 v35, 0xbf5ff5aa, v9
	v_fmamk_f32 v9, v10, 0xbf955555, v3
	v_fmac_f32_e32 v16, 0xbee1c552, v14
	v_fmamk_f32 v10, v11, 0xbf955555, v4
	s_delay_alu instid0(VALU_DEP_4) | instskip(NEXT) | instid1(VALU_DEP_2)
	v_fma_f32 v30, 0x3eae86e6, v34, -v35
	v_add_f32_e32 v32, v15, v10
	s_delay_alu instid0(VALU_DEP_2) | instskip(SKIP_3) | instid1(VALU_DEP_1)
	v_dual_add_f32 v15, v26, v10 :: v_dual_fmac_f32 v30, 0xbee1c552, v17
	v_add_f32_e32 v17, v12, v9
	v_fmamk_f32 v27, v18, 0xbeae86e6, v31
	v_dual_add_f32 v31, v8, v9 :: v_dual_lshlrev_b32 v26, 3, v43
	v_dual_fmac_f32 v27, 0xbee1c552, v14 :: v_dual_add_f32 v8, v28, v31
	v_fma_f32 v18, 0x3eae86e6, v18, -v33
	s_delay_alu instid0(VALU_DEP_1) | instskip(SKIP_2) | instid1(VALU_DEP_2)
	v_fmac_f32_e32 v18, 0xbee1c552, v14
	v_dual_add_f32 v14, v19, v9 :: v_dual_add_f32 v19, v13, v10
	v_dual_add_f32 v10, v30, v17 :: v_dual_add_f32 v13, v16, v15
	v_dual_sub_f32 v15, v15, v16 :: v_dual_sub_f32 v12, v14, v29
	v_sub_f32_e32 v9, v32, v27
	s_delay_alu instid0(VALU_DEP_4)
	v_sub_f32_e32 v11, v19, v18
	v_add_f32_e32 v14, v29, v14
	v_dual_sub_f32 v16, v17, v30 :: v_dual_add_f32 v17, v18, v19
	v_sub_f32_e32 v18, v31, v28
	v_add_f32_e32 v19, v27, v32
	ds_store_2addr_b64 v42, v[3:4], v[8:9] offset1:3
	ds_store_2addr_b64 v42, v[10:11], v[12:13] offset0:6 offset1:9
	ds_store_2addr_b64 v42, v[14:15], v[16:17] offset0:12 offset1:15
	ds_store_b64 v42, v[18:19] offset:144
	global_wb scope:SCOPE_SE
	s_wait_dscnt 0x0
	s_barrier_signal -1
	s_barrier_wait -1
	global_inv scope:SCOPE_SE
	s_clause 0x2
	global_load_b128 v[8:11], v26, s[8:9] offset:144
	global_load_b128 v[12:15], v26, s[8:9] offset:160
	;; [unrolled: 1-line block ×3, first 2 shown]
	ds_load_2addr_b64 v[26:29], v38 offset1:231
	ds_load_2addr_b64 v[30:33], v39 offset0:14 offset1:245
	ds_load_2addr_b64 v[34:37], v40 offset0:12 offset1:243
	s_wait_loadcnt_dscnt 0x101
	v_mul_f32_e32 v40, v13, v33
	s_wait_loadcnt_dscnt 0x0
	v_mul_f32_e32 v42, v17, v37
	v_and_b32_e32 v3, 0xffff, v5
	v_mul_f32_e32 v17, v17, v36
	v_fmac_f32_e32 v40, v12, v32
	s_delay_alu instid0(VALU_DEP_4) | instskip(NEXT) | instid1(VALU_DEP_4)
	v_fmac_f32_e32 v42, v16, v36
	v_mul_u32_u24_e32 v5, 0x498, v3
	ds_load_b64 v[3:4], v38 offset:11088
	v_dual_mul_f32 v41, v15, v35 :: v_dual_lshlrev_b32 v38, 3, v41
	v_mul_f32_e32 v15, v15, v34
	global_wb scope:SCOPE_SE
	s_wait_dscnt 0x0
	s_barrier_signal -1
	v_add3_u32 v38, 0, v5, v38
	v_fmac_f32_e32 v41, v14, v34
	s_barrier_wait -1
	global_inv scope:SCOPE_SE
	v_mul_f32_e32 v43, v19, v4
	v_mul_f32_e32 v19, v19, v3
	s_delay_alu instid0(VALU_DEP_2) | instskip(NEXT) | instid1(VALU_DEP_2)
	v_fmac_f32_e32 v43, v18, v3
	v_fma_f32 v3, v18, v4, -v19
	v_fma_f32 v4, v14, v35, -v15
	v_mul_f32_e32 v39, v11, v31
	v_mul_f32_e32 v11, v11, v30
	s_delay_alu instid0(VALU_DEP_2) | instskip(SKIP_2) | instid1(VALU_DEP_2)
	v_fmac_f32_e32 v39, v10, v30
	v_mul_f32_e32 v5, v9, v29
	v_mul_f32_e32 v9, v9, v28
	v_fmac_f32_e32 v5, v8, v28
	s_delay_alu instid0(VALU_DEP_2) | instskip(SKIP_2) | instid1(VALU_DEP_1)
	v_fma_f32 v8, v8, v29, -v9
	v_fma_f32 v9, v10, v31, -v11
	;; [unrolled: 1-line block ×3, first 2 shown]
	v_add_f32_e32 v14, v9, v11
	v_sub_f32_e32 v9, v9, v11
	v_add_f32_e32 v11, v40, v41
	v_mul_f32_e32 v13, v13, v32
	s_delay_alu instid0(VALU_DEP_1) | instskip(SKIP_3) | instid1(VALU_DEP_4)
	v_fma_f32 v10, v12, v33, -v13
	v_add_f32_e32 v13, v8, v3
	v_sub_f32_e32 v3, v8, v3
	v_add_f32_e32 v12, v5, v43
	v_add_f32_e32 v16, v10, v4
	s_delay_alu instid0(VALU_DEP_3) | instskip(SKIP_2) | instid1(VALU_DEP_4)
	v_dual_sub_f32 v4, v4, v10 :: v_dual_sub_f32 v33, v9, v3
	v_add_f32_e32 v18, v14, v13
	v_sub_f32_e32 v28, v14, v13
	v_sub_f32_e32 v14, v16, v14
	s_delay_alu instid0(VALU_DEP_4)
	v_sub_f32_e32 v32, v4, v9
	v_add_f32_e32 v8, v39, v42
	v_add_f32_e32 v30, v4, v9
	v_mul_f32_e32 v34, 0xbf5ff5aa, v33
	v_sub_f32_e32 v4, v3, v4
	v_sub_f32_e32 v13, v13, v16
	v_dual_add_f32 v10, v8, v12 :: v_dual_sub_f32 v15, v39, v42
	v_add_f32_e32 v3, v30, v3
	s_delay_alu instid0(VALU_DEP_3) | instskip(NEXT) | instid1(VALU_DEP_3)
	v_mul_f32_e32 v13, 0x3f4a47b2, v13
	v_dual_sub_f32 v17, v41, v40 :: v_dual_add_f32 v10, v11, v10
	v_sub_f32_e32 v29, v11, v8
	v_sub_f32_e32 v19, v8, v12
	;; [unrolled: 1-line block ×3, first 2 shown]
	v_add_f32_e32 v11, v16, v18
	v_mul_f32_e32 v18, 0x3d64c772, v14
	v_dual_fmamk_f32 v14, v14, 0x3d64c772, v13 :: v_dual_sub_f32 v31, v17, v15
	s_delay_alu instid0(VALU_DEP_4) | instskip(NEXT) | instid1(VALU_DEP_3)
	v_dual_mul_f32 v12, 0x3f4a47b2, v12 :: v_dual_sub_f32 v5, v5, v43
	v_fma_f32 v18, 0x3f3bfb3b, v28, -v18
	v_fma_f32 v13, 0xbf3bfb3b, v28, -v13
	s_delay_alu instid0(VALU_DEP_4) | instskip(SKIP_1) | instid1(VALU_DEP_1)
	v_mul_f32_e32 v30, 0x3f08b237, v31
	v_dual_add_f32 v8, v17, v15 :: v_dual_mul_f32 v31, 0x3f08b237, v32
	v_dual_fmamk_f32 v28, v4, 0xbeae86e6, v31 :: v_dual_sub_f32 v17, v5, v17
	v_fma_f32 v4, 0x3eae86e6, v4, -v34
	v_sub_f32_e32 v15, v15, v5
	s_delay_alu instid0(VALU_DEP_4) | instskip(NEXT) | instid1(VALU_DEP_4)
	v_dual_add_f32 v5, v8, v5 :: v_dual_add_f32 v8, v10, v26
	v_fmac_f32_e32 v28, 0xbee1c552, v3
	s_delay_alu instid0(VALU_DEP_4) | instskip(NEXT) | instid1(VALU_DEP_4)
	v_fmac_f32_e32 v4, 0xbee1c552, v3
	v_mul_f32_e32 v32, 0xbf5ff5aa, v15
	s_delay_alu instid0(VALU_DEP_4)
	v_dual_add_f32 v9, v11, v27 :: v_dual_fmamk_f32 v10, v10, 0xbf955555, v8
	v_mul_f32_e32 v16, 0x3d64c772, v29
	v_fmamk_f32 v26, v29, 0x3d64c772, v12
	v_fmamk_f32 v27, v17, 0xbeae86e6, v30
	v_fma_f32 v15, 0xbf5ff5aa, v15, -v30
	v_fma_f32 v30, 0x3eae86e6, v17, -v32
	;; [unrolled: 1-line block ×3, first 2 shown]
	v_fmamk_f32 v11, v11, 0xbf955555, v9
	v_fma_f32 v12, 0xbf3bfb3b, v19, -v12
	v_fmac_f32_e32 v27, 0xbee1c552, v5
	v_fmac_f32_e32 v15, 0xbee1c552, v5
	s_delay_alu instid0(VALU_DEP_4)
	v_dual_fmac_f32 v30, 0xbee1c552, v5 :: v_dual_add_f32 v5, v14, v11
	v_add_f32_e32 v14, v16, v10
	v_fma_f32 v29, 0xbf5ff5aa, v33, -v31
	v_add_f32_e32 v31, v13, v11
	v_add_f32_e32 v13, v18, v11
	v_sub_f32_e32 v11, v5, v27
	v_add_f32_e32 v5, v27, v5
	v_fmac_f32_e32 v29, 0xbee1c552, v3
	v_add_f32_e32 v3, v26, v10
	v_add_f32_e32 v26, v12, v10
	v_sub_f32_e32 v17, v31, v30
	v_add_f32_e32 v19, v15, v13
	v_sub_f32_e32 v18, v14, v29
	v_add_f32_e32 v10, v28, v3
	v_add_f32_e32 v16, v4, v26
	;; [unrolled: 1-line block ×3, first 2 shown]
	v_dual_sub_f32 v13, v13, v15 :: v_dual_sub_f32 v14, v26, v4
	v_dual_sub_f32 v4, v3, v28 :: v_dual_add_f32 v15, v30, v31
	ds_store_2addr_b64 v38, v[8:9], v[10:11] offset1:21
	ds_store_2addr_b64 v38, v[16:17], v[18:19] offset0:42 offset1:63
	ds_store_2addr_b64 v38, v[12:13], v[14:15] offset0:84 offset1:105
	ds_store_b64 v38, v[4:5] offset:1008
	global_wb scope:SCOPE_SE
	s_wait_dscnt 0x0
	s_barrier_signal -1
	s_barrier_wait -1
	global_inv scope:SCOPE_SE
                                        ; implicit-def: $vgpr26
	s_and_saveexec_b32 s1, s0
	s_cbranch_execz .LBB0_19
; %bb.18:
	v_sub_nc_u32_e32 v0, 0, v2
	s_delay_alu instid0(VALU_DEP_1) | instskip(NEXT) | instid1(VALU_DEP_1)
	v_add_nc_u32_e32 v25, v25, v0
	v_add_nc_u32_e32 v0, 0x800, v25
	;; [unrolled: 1-line block ×5, first 2 shown]
	ds_load_2addr_b64 v[8:11], v25 offset1:147
	ds_load_2addr_b64 v[16:19], v0 offset0:38 offset1:185
	ds_load_2addr_b64 v[12:15], v1 offset0:76 offset1:223
	;; [unrolled: 1-line block ×4, first 2 shown]
	ds_load_b64 v[25:26], v25 offset:11760
.LBB0_19:
	s_wait_alu 0xfffe
	s_or_b32 exec_lo, exec_lo, s1
	v_cmp_gt_u32_e64 s1, 0x93, v22
	s_delay_alu instid0(VALU_DEP_1)
	s_and_b32 s1, vcc_lo, s1
	s_wait_alu 0xfffe
	s_and_saveexec_b32 s4, s1
	s_cbranch_execz .LBB0_21
; %bb.20:
	v_add_nc_u32_e32 v27, 0xffffff6d, v22
	v_mov_b32_e32 v47, 0
	v_mul_lo_u32 v48, s3, v23
	v_mul_lo_u32 v49, s2, v24
	v_mad_co_u64_u32 v[23:24], null, s2, v23, 0
	v_cndmask_b32_e64 v27, v27, v22, s0
	v_lshlrev_b64_e32 v[20:21], 3, v[20:21]
	s_delay_alu instid0(VALU_DEP_2) | instskip(NEXT) | instid1(VALU_DEP_4)
	v_mul_i32_i24_e32 v46, 10, v27
	v_add3_u32 v24, v24, v49, v48
	s_delay_alu instid0(VALU_DEP_2) | instskip(NEXT) | instid1(VALU_DEP_2)
	v_lshlrev_b64_e32 v[27:28], 3, v[46:47]
	v_lshlrev_b64_e32 v[48:49], 3, v[23:24]
	s_delay_alu instid0(VALU_DEP_2) | instskip(SKIP_1) | instid1(VALU_DEP_3)
	v_add_co_u32 v43, vcc_lo, s8, v27
	s_wait_alu 0xfffd
	v_add_co_ci_u32_e32 v44, vcc_lo, s9, v28, vcc_lo
	s_delay_alu instid0(VALU_DEP_3)
	v_add_co_u32 v24, vcc_lo, s6, v48
	s_clause 0x4
	global_load_b128 v[27:30], v[43:44], off offset:1216
	global_load_b128 v[31:34], v[43:44], off offset:1152
	;; [unrolled: 1-line block ×5, first 2 shown]
	v_mov_b32_e32 v23, v47
	s_wait_alu 0xfffd
	v_add_co_ci_u32_e32 v47, vcc_lo, s7, v49, vcc_lo
	v_add_co_u32 v20, vcc_lo, v24, v20
	s_delay_alu instid0(VALU_DEP_3) | instskip(SKIP_1) | instid1(VALU_DEP_3)
	v_lshlrev_b64_e32 v[22:23], 3, v[22:23]
	s_wait_alu 0xfffd
	v_add_co_ci_u32_e32 v21, vcc_lo, v47, v21, vcc_lo
	s_delay_alu instid0(VALU_DEP_2) | instskip(SKIP_1) | instid1(VALU_DEP_2)
	v_add_co_u32 v20, vcc_lo, v20, v22
	s_wait_alu 0xfffd
	v_add_co_ci_u32_e32 v21, vcc_lo, v21, v23, vcc_lo
	s_wait_loadcnt_dscnt 0x400
	v_dual_mul_f32 v23, v25, v30 :: v_dual_mul_f32 v24, v3, v28
	s_wait_loadcnt 0x3
	v_dual_mul_f32 v47, v10, v32 :: v_dual_mul_f32 v48, v16, v34
	v_mul_f32_e32 v32, v11, v32
	v_mul_f32_e32 v22, v26, v30
	;; [unrolled: 1-line block ×3, first 2 shown]
	s_wait_loadcnt 0x1
	v_dual_mul_f32 v34, v17, v34 :: v_dual_mul_f32 v49, v18, v40
	s_wait_loadcnt 0x0
	v_dual_mul_f32 v28, v0, v38 :: v_dual_mul_f32 v53, v14, v44
	v_dual_mul_f32 v40, v19, v40 :: v_dual_mul_f32 v51, v12, v42
	v_fmac_f32_e32 v32, v10, v31
	v_fmac_f32_e32 v24, v2, v27
	s_delay_alu instid0(VALU_DEP_4)
	v_fma_f32 v10, v1, v37, -v28
	v_fmac_f32_e32 v34, v16, v33
	v_mul_f32_e32 v38, v1, v38
	v_fma_f32 v1, v19, v39, -v49
	v_fma_f32 v23, v26, v29, -v23
	;; [unrolled: 1-line block ×3, first 2 shown]
	v_mul_f32_e32 v42, v13, v42
	v_fmac_f32_e32 v40, v18, v39
	v_fma_f32 v2, v13, v41, -v51
	v_fmac_f32_e32 v22, v25, v29
	v_dual_mul_f32 v50, v6, v36 :: v_dual_sub_f32 v31, v1, v10
	v_dual_sub_f32 v13, v34, v24 :: v_dual_fmac_f32 v38, v0, v37
	v_mul_f32_e32 v36, v7, v36
	v_fma_f32 v25, v3, v27, -v30
	v_fma_f32 v3, v17, v33, -v48
	v_dual_sub_f32 v27, v11, v23 :: v_dual_fmac_f32 v42, v12, v41
	s_delay_alu instid0(VALU_DEP_4) | instskip(SKIP_1) | instid1(VALU_DEP_4)
	v_fmac_f32_e32 v36, v6, v35
	v_mul_f32_e32 v52, v4, v46
	v_dual_mul_f32 v46, v5, v46 :: v_dual_sub_f32 v29, v3, v25
	v_mul_f32_e32 v44, v15, v44
	v_fma_f32 v0, v7, v35, -v50
	v_fma_f32 v6, v15, v43, -v53
	s_delay_alu instid0(VALU_DEP_4) | instskip(SKIP_4) | instid1(VALU_DEP_3)
	v_dual_fmac_f32 v46, v4, v45 :: v_dual_mul_f32 v49, 0xbe903f40, v27
	v_add_f32_e32 v4, v23, v11
	v_add_f32_e32 v12, v25, v3
	v_dual_add_f32 v16, v0, v2 :: v_dual_mul_f32 v57, 0x3f7d64f0, v29
	v_add_f32_e32 v11, v9, v11
	v_dual_fmac_f32 v44, v14, v43 :: v_dual_mul_f32 v43, 0x3f575c64, v12
	s_delay_alu instid0(VALU_DEP_3) | instskip(SKIP_2) | instid1(VALU_DEP_4)
	v_mul_f32_e32 v47, 0x3ed4b147, v16
	v_sub_f32_e32 v17, v42, v36
	v_fma_f32 v5, v5, v45, -v52
	v_sub_f32_e32 v19, v44, v46
	v_dual_add_f32 v30, v8, v32 :: v_dual_mul_f32 v63, 0xbf7d64f0, v27
	v_sub_f32_e32 v33, v2, v0
	s_delay_alu instid0(VALU_DEP_4) | instskip(SKIP_4) | instid1(VALU_DEP_4)
	v_sub_f32_e32 v37, v6, v5
	v_dual_mul_f32 v51, 0xbf27a4f4, v4 :: v_dual_add_f32 v18, v5, v6
	v_dual_mul_f32 v59, 0xbf75a155, v12 :: v_dual_add_f32 v14, v10, v1
	v_sub_f32_e32 v7, v32, v22
	v_add_f32_e32 v39, v46, v44
	v_dual_mul_f32 v55, 0x3ed4b147, v18 :: v_dual_add_f32 v26, v22, v32
	s_delay_alu instid0(VALU_DEP_4)
	v_mul_f32_e32 v53, 0x3f575c64, v14
	v_mul_f32_e32 v41, 0xbf75a155, v4
	v_dual_add_f32 v32, v38, v40 :: v_dual_mul_f32 v69, 0xbf68dda4, v27
	v_mul_f32_e32 v45, 0xbf27a4f4, v14
	v_add_f32_e32 v35, v36, v42
	v_dual_add_f32 v28, v24, v34 :: v_dual_mul_f32 v61, 0x3f575c64, v16
	v_dual_mul_f32 v48, 0xbe11bafb, v18 :: v_dual_mul_f32 v67, 0xbe11bafb, v16
	v_dual_mul_f32 v50, 0x3f0a6770, v29 :: v_dual_add_f32 v3, v11, v3
	v_dual_mul_f32 v52, 0xbe11bafb, v12 :: v_dual_add_f32 v11, v30, v34
	v_mul_f32_e32 v56, 0xbf4178ce, v27
	v_dual_mul_f32 v58, 0xbe11bafb, v4 :: v_dual_fmamk_f32 v99, v26, 0xbe11bafb, v63
	s_delay_alu instid0(VALU_DEP_4)
	v_dual_mul_f32 v64, 0x3ed4b147, v4 :: v_dual_add_f32 v1, v3, v1
	v_mul_f32_e32 v4, 0x3f575c64, v4
	v_dual_mul_f32 v27, 0xbf0a6770, v27 :: v_dual_mul_f32 v76, 0xbf0a6770, v33
	v_dual_mul_f32 v30, 0x3e903f40, v29 :: v_dual_mul_f32 v73, 0x3e903f40, v31
	v_dual_sub_f32 v15, v40, v38 :: v_dual_mul_f32 v54, 0xbf75a155, v16
	v_fmamk_f32 v87, v26, 0xbf75a155, v49
	v_dual_mul_f32 v60, 0x3ed4b147, v14 :: v_dual_fmamk_f32 v101, v26, 0x3ed4b147, v69
	v_dual_mul_f32 v62, 0xbf27a4f4, v18 :: v_dual_mul_f32 v65, 0xbf27a4f4, v12
	v_dual_mul_f32 v66, 0xbf75a155, v14 :: v_dual_add_f32 v3, v11, v40
	v_mul_f32_e32 v68, 0x3f575c64, v18
	v_dual_mul_f32 v14, 0xbe11bafb, v14 :: v_dual_fmamk_f32 v107, v28, 0xbe11bafb, v57
	v_dual_mul_f32 v18, 0xbf75a155, v18 :: v_dual_fmamk_f32 v111, v32, 0xbf75a155, v73
	v_mul_f32_e32 v34, 0xbf4178ce, v29
	v_dual_mul_f32 v29, 0xbf68dda4, v29 :: v_dual_fmamk_f32 v92, v19, 0xbf68dda4, v55
	v_mul_f32_e32 v70, 0xbf4178ce, v31
	v_dual_mul_f32 v72, 0x3f68dda4, v31 :: v_dual_mul_f32 v79, 0x3f68dda4, v37
	v_mul_f32_e32 v12, 0x3ed4b147, v12
	v_dual_mul_f32 v74, 0x3f68dda4, v33 :: v_dual_fmac_f32 v55, 0x3f68dda4, v19
	v_mul_f32_e32 v75, 0xbe903f40, v33
	v_dual_mul_f32 v77, 0x3f7d64f0, v33 :: v_dual_fmamk_f32 v86, v19, 0x3f7d64f0, v48
	v_mul_f32_e32 v33, 0xbf4178ce, v33
	v_dual_mul_f32 v16, 0xbf27a4f4, v16 :: v_dual_fmamk_f32 v93, v26, 0xbf27a4f4, v56
	v_dual_fmamk_f32 v82, v7, 0x3e903f40, v41 :: v_dual_fmamk_f32 v91, v17, 0x3e903f40, v54
	v_fmamk_f32 v83, v13, 0xbf0a6770, v43
	v_dual_fmamk_f32 v88, v7, 0x3f4178ce, v51 :: v_dual_add_f32 v87, v8, v87
	v_fmamk_f32 v94, v7, 0x3f7d64f0, v58
	v_dual_fmamk_f32 v97, v17, 0x3f0a6770, v61 :: v_dual_fmamk_f32 v102, v7, 0x3f0a6770, v4
	v_fmamk_f32 v100, v7, 0x3f68dda4, v64
	v_fmac_f32_e32 v51, 0xbf4178ce, v7
	v_dual_fmac_f32 v58, 0xbf7d64f0, v7 :: v_dual_add_f32 v93, v8, v93
	v_dual_fmac_f32 v64, 0xbf68dda4, v7 :: v_dual_add_f32 v101, v8, v101
	v_fmac_f32_e32 v4, 0xbf0a6770, v7
	v_fma_f32 v56, 0xbf27a4f4, v26, -v56
	v_dual_fmamk_f32 v104, v17, 0xbf7d64f0, v67 :: v_dual_add_f32 v99, v8, v99
	v_fmac_f32_e32 v67, 0x3f7d64f0, v17
	v_dual_fmac_f32 v41, 0xbe903f40, v7 :: v_dual_add_f32 v94, v9, v94
	v_fmamk_f32 v7, v26, 0x3f575c64, v27
	v_dual_mul_f32 v71, 0xbf0a6770, v31 :: v_dual_add_f32 v82, v9, v82
	v_dual_mul_f32 v31, 0xbf7d64f0, v31 :: v_dual_mul_f32 v78, 0xbf7d64f0, v37
	v_mul_f32_e32 v80, 0xbf4178ce, v37
	v_dual_mul_f32 v81, 0x3f0a6770, v37 :: v_dual_fmamk_f32 v90, v15, 0x3f0a6770, v53
	v_dual_mul_f32 v37, 0xbe903f40, v37 :: v_dual_add_f32 v88, v9, v88
	v_fmamk_f32 v84, v15, 0x3f4178ce, v45
	v_dual_fmamk_f32 v85, v17, 0xbf68dda4, v47 :: v_dual_fmamk_f32 v96, v15, 0xbf68dda4, v60
	v_dual_fmamk_f32 v89, v13, 0xbf7d64f0, v52 :: v_dual_add_f32 v56, v8, v56
	v_dual_fmamk_f32 v95, v13, 0xbe903f40, v59 :: v_dual_fmac_f32 v54, 0xbe903f40, v17
	v_fmamk_f32 v98, v19, 0x3f4178ce, v62
	v_fma_f32 v49, 0xbf75a155, v26, -v49
	v_fma_f32 v63, 0xbe11bafb, v26, -v63
	;; [unrolled: 1-line block ×4, first 2 shown]
	v_fmamk_f32 v27, v13, 0x3f4178ce, v65
	v_dual_fmamk_f32 v105, v19, 0xbf0a6770, v68 :: v_dual_add_f32 v102, v9, v102
	v_dual_fmamk_f32 v106, v13, 0x3f68dda4, v12 :: v_dual_add_f32 v7, v8, v7
	v_dual_fmac_f32 v43, 0x3f0a6770, v13 :: v_dual_fmac_f32 v68, 0x3f0a6770, v19
	v_dual_fmac_f32 v52, 0x3f7d64f0, v13 :: v_dual_add_f32 v51, v9, v51
	v_fmac_f32_e32 v59, 0x3e903f40, v13
	v_fmac_f32_e32 v65, 0xbf4178ce, v13
	v_dual_fmac_f32 v12, 0xbf68dda4, v13 :: v_dual_add_f32 v63, v8, v63
	v_dual_fmamk_f32 v13, v15, 0x3f7d64f0, v14 :: v_dual_add_f32 v58, v9, v58
	v_fmac_f32_e32 v45, 0xbf4178ce, v15
	v_dual_fmac_f32 v53, 0xbf0a6770, v15 :: v_dual_add_f32 v64, v9, v64
	v_dual_fmac_f32 v60, 0x3f68dda4, v15 :: v_dual_add_f32 v41, v9, v41
	;; [unrolled: 1-line block ×3, first 2 shown]
	v_fmac_f32_e32 v47, 0x3f68dda4, v17
	v_dual_fmamk_f32 v103, v15, 0xbe903f40, v66 :: v_dual_add_f32 v100, v9, v100
	v_fmac_f32_e32 v66, 0x3e903f40, v15
	v_fmamk_f32 v15, v17, 0x3f4178ce, v16
	v_dual_fmac_f32 v61, 0xbf0a6770, v17 :: v_dual_add_f32 v4, v9, v4
	v_dual_fmac_f32 v16, 0xbf4178ce, v17 :: v_dual_add_f32 v1, v1, v2
	v_fmamk_f32 v17, v19, 0x3e903f40, v18
	v_dual_fmac_f32 v48, 0xbf7d64f0, v19 :: v_dual_add_f32 v69, v8, v69
	v_fmac_f32_e32 v62, 0xbf4178ce, v19
	v_fmac_f32_e32 v18, 0xbe903f40, v19
	v_fmamk_f32 v19, v28, 0x3f575c64, v50
	v_dual_fmamk_f32 v109, v28, 0xbf27a4f4, v34 :: v_dual_fmamk_f32 v114, v35, 0xbf27a4f4, v33
	v_fmamk_f32 v110, v28, 0x3ed4b147, v29
	v_dual_fmamk_f32 v11, v32, 0xbf27a4f4, v70 :: v_dual_add_f32 v2, v3, v42
	v_fma_f32 v50, 0x3f575c64, v28, -v50
	v_fma_f32 v57, 0xbe11bafb, v28, -v57
	v_dual_fmamk_f32 v108, v28, 0xbf75a155, v30 :: v_dual_fmamk_f32 v113, v35, 0xbf75a155, v75
	v_fma_f32 v30, 0xbf75a155, v28, -v30
	v_fma_f32 v34, 0xbf27a4f4, v28, -v34
	;; [unrolled: 1-line block ×4, first 2 shown]
	v_dual_fmamk_f32 v40, v32, 0x3f575c64, v71 :: v_dual_fmamk_f32 v9, v35, 0x3f575c64, v76
	v_fma_f32 v70, 0x3f575c64, v32, -v71
	v_fmamk_f32 v71, v32, 0x3ed4b147, v72
	v_fma_f32 v72, 0x3ed4b147, v32, -v72
	v_fma_f32 v73, 0xbf75a155, v32, -v73
	v_fmamk_f32 v112, v32, 0xbe11bafb, v31
	v_fma_f32 v31, 0xbe11bafb, v32, -v31
	v_dual_fmamk_f32 v32, v35, 0x3ed4b147, v74 :: v_dual_add_f32 v27, v100, v27
	v_fma_f32 v74, 0x3ed4b147, v35, -v74
	v_fma_f32 v75, 0xbf75a155, v35, -v75
	v_add_f32_e32 v8, v8, v26
	v_fma_f32 v26, 0x3f575c64, v35, -v76
	v_fmamk_f32 v76, v35, 0xbe11bafb, v77
	v_fma_f32 v77, 0xbe11bafb, v35, -v77
	v_fma_f32 v33, 0xbf27a4f4, v35, -v33
	v_fmamk_f32 v35, v39, 0xbe11bafb, v78
	v_fma_f32 v78, 0xbe11bafb, v39, -v78
	v_dual_fmamk_f32 v115, v39, 0x3ed4b147, v79 :: v_dual_add_f32 v42, v93, v107
	v_fma_f32 v79, 0x3ed4b147, v39, -v79
	v_dual_fmamk_f32 v116, v39, 0xbf27a4f4, v80 :: v_dual_add_f32 v1, v1, v6
	v_fma_f32 v80, 0xbf27a4f4, v39, -v80
	v_fmamk_f32 v117, v39, 0x3f575c64, v81
	v_fma_f32 v81, 0x3f575c64, v39, -v81
	v_fmamk_f32 v118, v39, 0xbf75a155, v37
	v_fma_f32 v37, 0xbf75a155, v39, -v37
	v_add_f32_e32 v3, v82, v83
	v_add_f32_e32 v19, v87, v19
	v_dual_add_f32 v39, v88, v89 :: v_dual_add_f32 v88, v102, v106
	v_dual_add_f32 v82, v94, v95 :: v_dual_add_f32 v87, v101, v109
	v_dual_add_f32 v7, v7, v110 :: v_dual_add_f32 v2, v2, v44
	v_dual_add_f32 v83, v99, v108 :: v_dual_add_f32 v6, v41, v43
	v_add_f32_e32 v41, v49, v50
	v_dual_add_f32 v43, v51, v52 :: v_dual_add_f32 v44, v56, v57
	v_dual_add_f32 v49, v58, v59 :: v_dual_add_f32 v30, v63, v30
	v_dual_add_f32 v50, v64, v65 :: v_dual_add_f32 v3, v3, v84
	v_dual_add_f32 v34, v69, v34 :: v_dual_add_f32 v11, v19, v11
	;; [unrolled: 5-line block ×3, first 2 shown]
	v_dual_add_f32 v7, v7, v112 :: v_dual_add_f32 v2, v46, v2
	v_add_f32_e32 v39, v83, v71
	v_dual_add_f32 v5, v6, v45 :: v_dual_add_f32 v42, v49, v60
	v_dual_add_f32 v6, v41, v29 :: v_dual_add_f32 v41, v44, v70
	v_dual_add_f32 v29, v43, v53 :: v_dual_add_f32 v30, v30, v72
	v_dual_add_f32 v43, v50, v66 :: v_dual_add_f32 v8, v8, v31
	v_dual_add_f32 v34, v34, v73 :: v_dual_add_f32 v11, v11, v32
	v_dual_add_f32 v4, v4, v14 :: v_dual_add_f32 v3, v3, v85
	v_dual_add_f32 v14, v19, v113 :: v_dual_add_f32 v13, v13, v15
	v_add_f32_e32 v19, v28, v97
	v_dual_add_f32 v27, v27, v104 :: v_dual_add_f32 v32, v36, v2
	v_dual_add_f32 v28, v40, v76 :: v_dual_add_f32 v15, v7, v114
	v_dual_add_f32 v31, v0, v1 :: v_dual_add_f32 v40, v41, v75
	v_dual_add_f32 v12, v12, v91 :: v_dual_add_f32 v9, v39, v9
	v_dual_add_f32 v36, v5, v47 :: v_dual_add_f32 v39, v6, v74
	v_dual_add_f32 v41, v42, v61 :: v_dual_add_f32 v42, v4, v16
	;; [unrolled: 8-line block ×3, first 2 shown]
	v_dual_add_f32 v9, v13, v17 :: v_dual_add_f32 v8, v15, v118
	v_dual_add_f32 v17, v30, v68 :: v_dual_add_f32 v24, v24, v19
	;; [unrolled: 1-line block ×8, first 2 shown]
	s_clause 0xa
	global_store_b64 v[20:21], v[2:3], off offset:4704
	global_store_b64 v[20:21], v[0:1], off offset:5880
	;; [unrolled: 1-line block ×7, first 2 shown]
	global_store_b64 v[20:21], v[22:23], off
	global_store_b64 v[20:21], v[14:15], off offset:9408
	global_store_b64 v[20:21], v[16:17], off offset:10584
	global_store_b64 v[20:21], v[18:19], off offset:11760
.LBB0_21:
	s_nop 0
	s_sendmsg sendmsg(MSG_DEALLOC_VGPRS)
	s_endpgm
	.section	.rodata,"a",@progbits
	.p2align	6, 0x0
	.amdhsa_kernel fft_rtc_back_len1617_factors_3_7_7_11_wgs_231_tpt_231_sp_op_CI_CI_unitstride_sbrr_dirReg
		.amdhsa_group_segment_fixed_size 0
		.amdhsa_private_segment_fixed_size 0
		.amdhsa_kernarg_size 104
		.amdhsa_user_sgpr_count 2
		.amdhsa_user_sgpr_dispatch_ptr 0
		.amdhsa_user_sgpr_queue_ptr 0
		.amdhsa_user_sgpr_kernarg_segment_ptr 1
		.amdhsa_user_sgpr_dispatch_id 0
		.amdhsa_user_sgpr_private_segment_size 0
		.amdhsa_wavefront_size32 1
		.amdhsa_uses_dynamic_stack 0
		.amdhsa_enable_private_segment 0
		.amdhsa_system_sgpr_workgroup_id_x 1
		.amdhsa_system_sgpr_workgroup_id_y 0
		.amdhsa_system_sgpr_workgroup_id_z 0
		.amdhsa_system_sgpr_workgroup_info 0
		.amdhsa_system_vgpr_workitem_id 0
		.amdhsa_next_free_vgpr 119
		.amdhsa_next_free_sgpr 39
		.amdhsa_reserve_vcc 1
		.amdhsa_float_round_mode_32 0
		.amdhsa_float_round_mode_16_64 0
		.amdhsa_float_denorm_mode_32 3
		.amdhsa_float_denorm_mode_16_64 3
		.amdhsa_fp16_overflow 0
		.amdhsa_workgroup_processor_mode 1
		.amdhsa_memory_ordered 1
		.amdhsa_forward_progress 0
		.amdhsa_round_robin_scheduling 0
		.amdhsa_exception_fp_ieee_invalid_op 0
		.amdhsa_exception_fp_denorm_src 0
		.amdhsa_exception_fp_ieee_div_zero 0
		.amdhsa_exception_fp_ieee_overflow 0
		.amdhsa_exception_fp_ieee_underflow 0
		.amdhsa_exception_fp_ieee_inexact 0
		.amdhsa_exception_int_div_zero 0
	.end_amdhsa_kernel
	.text
.Lfunc_end0:
	.size	fft_rtc_back_len1617_factors_3_7_7_11_wgs_231_tpt_231_sp_op_CI_CI_unitstride_sbrr_dirReg, .Lfunc_end0-fft_rtc_back_len1617_factors_3_7_7_11_wgs_231_tpt_231_sp_op_CI_CI_unitstride_sbrr_dirReg
                                        ; -- End function
	.section	.AMDGPU.csdata,"",@progbits
; Kernel info:
; codeLenInByte = 6464
; NumSgprs: 41
; NumVgprs: 119
; ScratchSize: 0
; MemoryBound: 0
; FloatMode: 240
; IeeeMode: 1
; LDSByteSize: 0 bytes/workgroup (compile time only)
; SGPRBlocks: 5
; VGPRBlocks: 14
; NumSGPRsForWavesPerEU: 41
; NumVGPRsForWavesPerEU: 119
; Occupancy: 12
; WaveLimiterHint : 1
; COMPUTE_PGM_RSRC2:SCRATCH_EN: 0
; COMPUTE_PGM_RSRC2:USER_SGPR: 2
; COMPUTE_PGM_RSRC2:TRAP_HANDLER: 0
; COMPUTE_PGM_RSRC2:TGID_X_EN: 1
; COMPUTE_PGM_RSRC2:TGID_Y_EN: 0
; COMPUTE_PGM_RSRC2:TGID_Z_EN: 0
; COMPUTE_PGM_RSRC2:TIDIG_COMP_CNT: 0
	.text
	.p2alignl 7, 3214868480
	.fill 96, 4, 3214868480
	.type	__hip_cuid_f3d34a11adc729b6,@object ; @__hip_cuid_f3d34a11adc729b6
	.section	.bss,"aw",@nobits
	.globl	__hip_cuid_f3d34a11adc729b6
__hip_cuid_f3d34a11adc729b6:
	.byte	0                               ; 0x0
	.size	__hip_cuid_f3d34a11adc729b6, 1

	.ident	"AMD clang version 19.0.0git (https://github.com/RadeonOpenCompute/llvm-project roc-6.4.0 25133 c7fe45cf4b819c5991fe208aaa96edf142730f1d)"
	.section	".note.GNU-stack","",@progbits
	.addrsig
	.addrsig_sym __hip_cuid_f3d34a11adc729b6
	.amdgpu_metadata
---
amdhsa.kernels:
  - .args:
      - .actual_access:  read_only
        .address_space:  global
        .offset:         0
        .size:           8
        .value_kind:     global_buffer
      - .offset:         8
        .size:           8
        .value_kind:     by_value
      - .actual_access:  read_only
        .address_space:  global
        .offset:         16
        .size:           8
        .value_kind:     global_buffer
      - .actual_access:  read_only
        .address_space:  global
        .offset:         24
        .size:           8
        .value_kind:     global_buffer
      - .actual_access:  read_only
        .address_space:  global
        .offset:         32
        .size:           8
        .value_kind:     global_buffer
      - .offset:         40
        .size:           8
        .value_kind:     by_value
      - .actual_access:  read_only
        .address_space:  global
        .offset:         48
        .size:           8
        .value_kind:     global_buffer
      - .actual_access:  read_only
        .address_space:  global
        .offset:         56
        .size:           8
        .value_kind:     global_buffer
      - .offset:         64
        .size:           4
        .value_kind:     by_value
      - .actual_access:  read_only
        .address_space:  global
        .offset:         72
        .size:           8
        .value_kind:     global_buffer
      - .actual_access:  read_only
        .address_space:  global
        .offset:         80
        .size:           8
        .value_kind:     global_buffer
      - .actual_access:  read_only
        .address_space:  global
        .offset:         88
        .size:           8
        .value_kind:     global_buffer
      - .actual_access:  write_only
        .address_space:  global
        .offset:         96
        .size:           8
        .value_kind:     global_buffer
    .group_segment_fixed_size: 0
    .kernarg_segment_align: 8
    .kernarg_segment_size: 104
    .language:       OpenCL C
    .language_version:
      - 2
      - 0
    .max_flat_workgroup_size: 231
    .name:           fft_rtc_back_len1617_factors_3_7_7_11_wgs_231_tpt_231_sp_op_CI_CI_unitstride_sbrr_dirReg
    .private_segment_fixed_size: 0
    .sgpr_count:     41
    .sgpr_spill_count: 0
    .symbol:         fft_rtc_back_len1617_factors_3_7_7_11_wgs_231_tpt_231_sp_op_CI_CI_unitstride_sbrr_dirReg.kd
    .uniform_work_group_size: 1
    .uses_dynamic_stack: false
    .vgpr_count:     119
    .vgpr_spill_count: 0
    .wavefront_size: 32
    .workgroup_processor_mode: 1
amdhsa.target:   amdgcn-amd-amdhsa--gfx1201
amdhsa.version:
  - 1
  - 2
...

	.end_amdgpu_metadata
